;; amdgpu-corpus repo=ROCm/rocFFT kind=compiled arch=gfx906 opt=O3
	.text
	.amdgcn_target "amdgcn-amd-amdhsa--gfx906"
	.amdhsa_code_object_version 6
	.protected	fft_rtc_fwd_len585_factors_13_5_9_wgs_195_tpt_65_dp_op_CI_CI_sbrr_dirReg ; -- Begin function fft_rtc_fwd_len585_factors_13_5_9_wgs_195_tpt_65_dp_op_CI_CI_sbrr_dirReg
	.globl	fft_rtc_fwd_len585_factors_13_5_9_wgs_195_tpt_65_dp_op_CI_CI_sbrr_dirReg
	.p2align	8
	.type	fft_rtc_fwd_len585_factors_13_5_9_wgs_195_tpt_65_dp_op_CI_CI_sbrr_dirReg,@function
fft_rtc_fwd_len585_factors_13_5_9_wgs_195_tpt_65_dp_op_CI_CI_sbrr_dirReg: ; @fft_rtc_fwd_len585_factors_13_5_9_wgs_195_tpt_65_dp_op_CI_CI_sbrr_dirReg
; %bb.0:
	s_load_dwordx4 s[16:19], s[4:5], 0x18
	s_load_dwordx4 s[12:15], s[4:5], 0x0
	;; [unrolled: 1-line block ×3, first 2 shown]
	v_mul_u32_u24_e32 v1, 0x3f1, v0
	v_lshrrev_b32_e32 v1, 16, v1
	v_mad_u64_u32 v[76:77], s[0:1], s6, 3, v[1:2]
	s_waitcnt lgkmcnt(0)
	s_load_dwordx2 s[20:21], s[16:17], 0x0
	s_load_dwordx2 s[2:3], s[18:19], 0x0
	v_mov_b32_e32 v1, 0
	v_mov_b32_e32 v3, 0
	v_cmp_lt_u64_e64 s[0:1], s[14:15], 2
	v_mov_b32_e32 v2, 0
	v_mov_b32_e32 v77, v3
	;; [unrolled: 1-line block ×4, first 2 shown]
	s_and_b64 vcc, exec, s[0:1]
	v_mov_b32_e32 v72, v1
	v_mov_b32_e32 v75, v77
	s_cbranch_vccnz .LBB0_8
; %bb.1:
	s_load_dwordx2 s[0:1], s[4:5], 0x10
	s_add_u32 s6, s18, 8
	s_addc_u32 s7, s19, 0
	s_add_u32 s22, s16, 8
	v_mov_b32_e32 v1, 0
	s_addc_u32 s23, s17, 0
	v_mov_b32_e32 v2, 0
	s_waitcnt lgkmcnt(0)
	s_add_u32 s24, s0, 8
	v_mov_b32_e32 v73, v2
	v_mov_b32_e32 v5, v76
	s_addc_u32 s25, s1, 0
	s_mov_b64 s[26:27], 1
	v_mov_b32_e32 v72, v1
	v_mov_b32_e32 v6, v77
.LBB0_2:                                ; =>This Inner Loop Header: Depth=1
	s_load_dwordx2 s[28:29], s[24:25], 0x0
                                        ; implicit-def: $vgpr74_vgpr75
	s_waitcnt lgkmcnt(0)
	v_or_b32_e32 v4, s29, v6
	v_cmp_ne_u64_e32 vcc, 0, v[3:4]
	s_and_saveexec_b64 s[0:1], vcc
	s_xor_b64 s[30:31], exec, s[0:1]
	s_cbranch_execz .LBB0_4
; %bb.3:                                ;   in Loop: Header=BB0_2 Depth=1
	v_cvt_f32_u32_e32 v4, s28
	v_cvt_f32_u32_e32 v7, s29
	s_sub_u32 s0, 0, s28
	s_subb_u32 s1, 0, s29
	v_mac_f32_e32 v4, 0x4f800000, v7
	v_rcp_f32_e32 v4, v4
	v_mul_f32_e32 v4, 0x5f7ffffc, v4
	v_mul_f32_e32 v7, 0x2f800000, v4
	v_trunc_f32_e32 v7, v7
	v_mac_f32_e32 v4, 0xcf800000, v7
	v_cvt_u32_f32_e32 v7, v7
	v_cvt_u32_f32_e32 v4, v4
	v_mul_lo_u32 v8, s0, v7
	v_mul_hi_u32 v9, s0, v4
	v_mul_lo_u32 v11, s1, v4
	v_mul_lo_u32 v10, s0, v4
	v_add_u32_e32 v8, v9, v8
	v_add_u32_e32 v8, v8, v11
	v_mul_hi_u32 v9, v4, v10
	v_mul_lo_u32 v11, v4, v8
	v_mul_hi_u32 v13, v4, v8
	v_mul_hi_u32 v12, v7, v10
	v_mul_lo_u32 v10, v7, v10
	v_mul_hi_u32 v14, v7, v8
	v_add_co_u32_e32 v9, vcc, v9, v11
	v_addc_co_u32_e32 v11, vcc, 0, v13, vcc
	v_mul_lo_u32 v8, v7, v8
	v_add_co_u32_e32 v9, vcc, v9, v10
	v_addc_co_u32_e32 v9, vcc, v11, v12, vcc
	v_addc_co_u32_e32 v10, vcc, 0, v14, vcc
	v_add_co_u32_e32 v8, vcc, v9, v8
	v_addc_co_u32_e32 v9, vcc, 0, v10, vcc
	v_add_co_u32_e32 v4, vcc, v4, v8
	v_addc_co_u32_e32 v7, vcc, v7, v9, vcc
	v_mul_lo_u32 v8, s0, v7
	v_mul_hi_u32 v9, s0, v4
	v_mul_lo_u32 v10, s1, v4
	v_mul_lo_u32 v11, s0, v4
	v_add_u32_e32 v8, v9, v8
	v_add_u32_e32 v8, v8, v10
	v_mul_lo_u32 v12, v4, v8
	v_mul_hi_u32 v13, v4, v11
	v_mul_hi_u32 v14, v4, v8
	;; [unrolled: 1-line block ×3, first 2 shown]
	v_mul_lo_u32 v11, v7, v11
	v_mul_hi_u32 v9, v7, v8
	v_add_co_u32_e32 v12, vcc, v13, v12
	v_addc_co_u32_e32 v13, vcc, 0, v14, vcc
	v_mul_lo_u32 v8, v7, v8
	v_add_co_u32_e32 v11, vcc, v12, v11
	v_addc_co_u32_e32 v10, vcc, v13, v10, vcc
	v_addc_co_u32_e32 v9, vcc, 0, v9, vcc
	v_add_co_u32_e32 v8, vcc, v10, v8
	v_addc_co_u32_e32 v9, vcc, 0, v9, vcc
	v_add_co_u32_e32 v4, vcc, v4, v8
	v_addc_co_u32_e32 v9, vcc, v7, v9, vcc
	v_mad_u64_u32 v[7:8], s[0:1], v5, v9, 0
	v_mul_hi_u32 v10, v5, v4
	v_add_co_u32_e32 v11, vcc, v10, v7
	v_addc_co_u32_e32 v12, vcc, 0, v8, vcc
	v_mad_u64_u32 v[7:8], s[0:1], v6, v4, 0
	v_mad_u64_u32 v[9:10], s[0:1], v6, v9, 0
	v_add_co_u32_e32 v4, vcc, v11, v7
	v_addc_co_u32_e32 v4, vcc, v12, v8, vcc
	v_addc_co_u32_e32 v7, vcc, 0, v10, vcc
	v_add_co_u32_e32 v4, vcc, v4, v9
	v_addc_co_u32_e32 v9, vcc, 0, v7, vcc
	v_mul_lo_u32 v10, s29, v4
	v_mul_lo_u32 v11, s28, v9
	v_mad_u64_u32 v[7:8], s[0:1], s28, v4, 0
	v_add3_u32 v8, v8, v11, v10
	v_sub_u32_e32 v10, v6, v8
	v_mov_b32_e32 v11, s29
	v_sub_co_u32_e32 v7, vcc, v5, v7
	v_subb_co_u32_e64 v10, s[0:1], v10, v11, vcc
	v_subrev_co_u32_e64 v11, s[0:1], s28, v7
	v_subbrev_co_u32_e64 v10, s[0:1], 0, v10, s[0:1]
	v_cmp_le_u32_e64 s[0:1], s29, v10
	v_cndmask_b32_e64 v12, 0, -1, s[0:1]
	v_cmp_le_u32_e64 s[0:1], s28, v11
	v_cndmask_b32_e64 v11, 0, -1, s[0:1]
	v_cmp_eq_u32_e64 s[0:1], s29, v10
	v_cndmask_b32_e64 v10, v12, v11, s[0:1]
	v_add_co_u32_e64 v11, s[0:1], 2, v4
	v_addc_co_u32_e64 v12, s[0:1], 0, v9, s[0:1]
	v_add_co_u32_e64 v13, s[0:1], 1, v4
	v_addc_co_u32_e64 v14, s[0:1], 0, v9, s[0:1]
	v_subb_co_u32_e32 v8, vcc, v6, v8, vcc
	v_cmp_ne_u32_e64 s[0:1], 0, v10
	v_cmp_le_u32_e32 vcc, s29, v8
	v_cndmask_b32_e64 v10, v14, v12, s[0:1]
	v_cndmask_b32_e64 v12, 0, -1, vcc
	v_cmp_le_u32_e32 vcc, s28, v7
	v_cndmask_b32_e64 v7, 0, -1, vcc
	v_cmp_eq_u32_e32 vcc, s29, v8
	v_cndmask_b32_e32 v7, v12, v7, vcc
	v_cmp_ne_u32_e32 vcc, 0, v7
	v_cndmask_b32_e64 v7, v13, v11, s[0:1]
	v_cndmask_b32_e32 v75, v9, v10, vcc
	v_cndmask_b32_e32 v74, v4, v7, vcc
.LBB0_4:                                ;   in Loop: Header=BB0_2 Depth=1
	s_andn2_saveexec_b64 s[0:1], s[30:31]
	s_cbranch_execz .LBB0_6
; %bb.5:                                ;   in Loop: Header=BB0_2 Depth=1
	v_cvt_f32_u32_e32 v4, s28
	s_sub_i32 s30, 0, s28
	v_mov_b32_e32 v75, v3
	v_rcp_iflag_f32_e32 v4, v4
	v_mul_f32_e32 v4, 0x4f7ffffe, v4
	v_cvt_u32_f32_e32 v4, v4
	v_mul_lo_u32 v7, s30, v4
	v_mul_hi_u32 v7, v4, v7
	v_add_u32_e32 v4, v4, v7
	v_mul_hi_u32 v4, v5, v4
	v_mul_lo_u32 v7, v4, s28
	v_add_u32_e32 v8, 1, v4
	v_sub_u32_e32 v7, v5, v7
	v_subrev_u32_e32 v9, s28, v7
	v_cmp_le_u32_e32 vcc, s28, v7
	v_cndmask_b32_e32 v7, v7, v9, vcc
	v_cndmask_b32_e32 v4, v4, v8, vcc
	v_add_u32_e32 v8, 1, v4
	v_cmp_le_u32_e32 vcc, s28, v7
	v_cndmask_b32_e32 v74, v4, v8, vcc
.LBB0_6:                                ;   in Loop: Header=BB0_2 Depth=1
	s_or_b64 exec, exec, s[0:1]
	v_mul_lo_u32 v4, v75, s28
	v_mul_lo_u32 v9, v74, s29
	v_mad_u64_u32 v[7:8], s[0:1], v74, s28, 0
	s_load_dwordx2 s[0:1], s[22:23], 0x0
	s_load_dwordx2 s[28:29], s[6:7], 0x0
	v_add3_u32 v4, v8, v9, v4
	v_sub_co_u32_e32 v5, vcc, v5, v7
	v_subb_co_u32_e32 v4, vcc, v6, v4, vcc
	s_waitcnt lgkmcnt(0)
	v_mul_lo_u32 v6, s0, v4
	v_mul_lo_u32 v7, s1, v5
	v_mad_u64_u32 v[1:2], s[0:1], s0, v5, v[1:2]
	v_mul_lo_u32 v4, s28, v4
	v_mul_lo_u32 v8, s29, v5
	v_mad_u64_u32 v[72:73], s[0:1], s28, v5, v[72:73]
	s_add_u32 s26, s26, 1
	s_addc_u32 s27, s27, 0
	s_add_u32 s6, s6, 8
	v_add3_u32 v73, v8, v73, v4
	s_addc_u32 s7, s7, 0
	v_mov_b32_e32 v4, s14
	s_add_u32 s22, s22, 8
	v_mov_b32_e32 v5, s15
	s_addc_u32 s23, s23, 0
	v_cmp_ge_u64_e32 vcc, s[26:27], v[4:5]
	s_add_u32 s24, s24, 8
	v_add3_u32 v2, v7, v2, v6
	s_addc_u32 s25, s25, 0
	s_cbranch_vccnz .LBB0_8
; %bb.7:                                ;   in Loop: Header=BB0_2 Depth=1
	v_mov_b32_e32 v5, v74
	v_mov_b32_e32 v6, v75
	s_branch .LBB0_2
.LBB0_8:
	s_lshl_b64 s[22:23], s[14:15], 3
	s_load_dwordx2 s[0:1], s[4:5], 0x28
	s_add_u32 s4, s18, s22
	s_mov_b32 s5, 0x3f03f04
	v_mul_hi_u32 v3, v0, s5
	s_addc_u32 s5, s19, s23
	s_load_dwordx2 s[4:5], s[4:5], 0x0
	s_waitcnt lgkmcnt(0)
	v_cmp_gt_u64_e32 vcc, s[0:1], v[74:75]
	v_mul_u32_u24_e32 v3, 0x41, v3
	v_sub_u32_e32 v150, v0, v3
	v_mov_b32_e32 v149, 0
                                        ; implicit-def: $vgpr6_vgpr7
                                        ; implicit-def: $vgpr10_vgpr11
                                        ; implicit-def: $vgpr14_vgpr15
                                        ; implicit-def: $vgpr18_vgpr19
                                        ; implicit-def: $vgpr26_vgpr27
                                        ; implicit-def: $vgpr34_vgpr35
                                        ; implicit-def: $vgpr38_vgpr39
                                        ; implicit-def: $vgpr42_vgpr43
                                        ; implicit-def: $vgpr46_vgpr47
                                        ; implicit-def: $vgpr50_vgpr51
                                        ; implicit-def: $vgpr54_vgpr55
                                        ; implicit-def: $vgpr58_vgpr59
                                        ; implicit-def: $vgpr22_vgpr23
	s_and_saveexec_b64 s[6:7], vcc
	s_cbranch_execz .LBB0_12
; %bb.9:
	v_cmp_gt_u32_e64 s[0:1], 45, v150
                                        ; implicit-def: $vgpr20_vgpr21
                                        ; implicit-def: $vgpr56_vgpr57
                                        ; implicit-def: $vgpr52_vgpr53
                                        ; implicit-def: $vgpr48_vgpr49
                                        ; implicit-def: $vgpr44_vgpr45
                                        ; implicit-def: $vgpr40_vgpr41
                                        ; implicit-def: $vgpr36_vgpr37
                                        ; implicit-def: $vgpr32_vgpr33
                                        ; implicit-def: $vgpr24_vgpr25
                                        ; implicit-def: $vgpr16_vgpr17
                                        ; implicit-def: $vgpr12_vgpr13
                                        ; implicit-def: $vgpr8_vgpr9
                                        ; implicit-def: $vgpr4_vgpr5
	s_and_saveexec_b64 s[14:15], s[0:1]
	s_cbranch_execz .LBB0_11
; %bb.10:
	s_add_u32 s0, s16, s22
	s_addc_u32 s1, s17, s23
	s_load_dwordx2 s[0:1], s[0:1], 0x0
	v_mad_u64_u32 v[3:4], s[16:17], s20, v150, 0
	v_add_u32_e32 v14, 0xe1, v150
	v_mov_b32_e32 v0, v4
	s_waitcnt lgkmcnt(0)
	v_mul_lo_u32 v9, s1, v74
	v_mul_lo_u32 v10, s0, v75
	v_mad_u64_u32 v[5:6], s[0:1], s0, v74, 0
	v_mad_u64_u32 v[7:8], s[0:1], s21, v150, v[0:1]
	v_add3_u32 v6, v6, v10, v9
	v_lshlrev_b64 v[5:6], 4, v[5:6]
	v_mov_b32_e32 v4, v7
	v_mov_b32_e32 v0, s9
	v_add_co_u32_e64 v7, s[0:1], s8, v5
	v_add_u32_e32 v9, 45, v150
	v_addc_co_u32_e64 v8, s[0:1], v0, v6, s[0:1]
	v_mad_u64_u32 v[5:6], s[0:1], s20, v9, 0
	v_lshlrev_b64 v[0:1], 4, v[1:2]
	v_add_u32_e32 v10, 0x87, v150
	v_add_co_u32_e64 v12, s[0:1], v7, v0
	v_mov_b32_e32 v2, v6
	v_addc_co_u32_e64 v13, s[0:1], v8, v1, s[0:1]
	v_lshlrev_b64 v[0:1], 4, v[3:4]
	v_mad_u64_u32 v[2:3], s[0:1], s21, v9, v[2:3]
	v_add_u32_e32 v7, 0x5a, v150
	v_mad_u64_u32 v[3:4], s[0:1], s20, v7, 0
	v_add_co_u32_e64 v0, s[0:1], v12, v0
	v_mov_b32_e32 v6, v2
	v_mov_b32_e32 v2, v4
	v_addc_co_u32_e64 v1, s[0:1], v13, v1, s[0:1]
	v_mad_u64_u32 v[7:8], s[0:1], s21, v7, v[2:3]
	v_mad_u64_u32 v[8:9], s[0:1], s20, v10, 0
	v_lshlrev_b64 v[5:6], 4, v[5:6]
	v_mov_b32_e32 v4, v7
	v_add_co_u32_e64 v28, s[0:1], v12, v5
	v_lshlrev_b64 v[2:3], 4, v[3:4]
	v_mov_b32_e32 v4, v9
	v_addc_co_u32_e64 v29, s[0:1], v13, v6, s[0:1]
	v_mad_u64_u32 v[4:5], s[0:1], s21, v10, v[4:5]
	v_add_u32_e32 v10, 0xb4, v150
	v_mad_u64_u32 v[5:6], s[0:1], s20, v10, 0
	v_add_co_u32_e64 v2, s[0:1], v12, v2
	v_mov_b32_e32 v9, v4
	v_mov_b32_e32 v4, v6
	v_addc_co_u32_e64 v3, s[0:1], v13, v3, s[0:1]
	v_lshlrev_b64 v[7:8], 4, v[8:9]
	v_mad_u64_u32 v[9:10], s[0:1], s21, v10, v[4:5]
	v_mad_u64_u32 v[10:11], s[0:1], s20, v14, 0
	v_mov_b32_e32 v6, v9
	v_add_co_u32_e64 v30, s[0:1], v12, v7
	v_lshlrev_b64 v[4:5], 4, v[5:6]
	v_mov_b32_e32 v6, v11
	v_addc_co_u32_e64 v31, s[0:1], v13, v8, s[0:1]
	v_mad_u64_u32 v[6:7], s[0:1], s21, v14, v[6:7]
	v_add_u32_e32 v9, 0x10e, v150
	v_mad_u64_u32 v[7:8], s[0:1], s20, v9, 0
	v_add_co_u32_e64 v60, s[0:1], v12, v4
	v_mov_b32_e32 v11, v6
	v_mov_b32_e32 v6, v8
	v_addc_co_u32_e64 v61, s[0:1], v13, v5, s[0:1]
	v_lshlrev_b64 v[4:5], 4, v[10:11]
	v_mad_u64_u32 v[8:9], s[0:1], s21, v9, v[6:7]
	v_add_u32_e32 v11, 0x13b, v150
	v_mad_u64_u32 v[9:10], s[0:1], s20, v11, 0
	v_add_co_u32_e64 v62, s[0:1], v12, v4
	v_mov_b32_e32 v6, v10
	v_addc_co_u32_e64 v63, s[0:1], v13, v5, s[0:1]
	v_lshlrev_b64 v[4:5], 4, v[7:8]
	v_mad_u64_u32 v[6:7], s[0:1], s21, v11, v[6:7]
	v_add_u32_e32 v11, 0x168, v150
	v_mad_u64_u32 v[7:8], s[0:1], s20, v11, 0
	v_add_co_u32_e64 v64, s[0:1], v12, v4
	v_mov_b32_e32 v10, v6
	v_mov_b32_e32 v6, v8
	v_addc_co_u32_e64 v65, s[0:1], v13, v5, s[0:1]
	v_lshlrev_b64 v[4:5], 4, v[9:10]
	v_mad_u64_u32 v[8:9], s[0:1], s21, v11, v[6:7]
	v_add_u32_e32 v11, 0x195, v150
	v_mad_u64_u32 v[9:10], s[0:1], s20, v11, 0
	v_add_co_u32_e64 v66, s[0:1], v12, v4
	v_mov_b32_e32 v6, v10
	v_addc_co_u32_e64 v67, s[0:1], v13, v5, s[0:1]
	v_lshlrev_b64 v[4:5], 4, v[7:8]
	;; [unrolled: 15-line block ×3, first 2 shown]
	v_mad_u64_u32 v[6:7], s[0:1], s21, v11, v[6:7]
	v_add_u32_e32 v11, 0x21c, v150
	v_mad_u64_u32 v[7:8], s[0:1], s20, v11, 0
	v_add_co_u32_e64 v77, s[0:1], v12, v4
	v_mov_b32_e32 v10, v6
	v_mov_b32_e32 v6, v8
	v_addc_co_u32_e64 v78, s[0:1], v13, v5, s[0:1]
	v_lshlrev_b64 v[4:5], 4, v[9:10]
	v_mad_u64_u32 v[8:9], s[0:1], s21, v11, v[6:7]
	v_add_co_u32_e64 v79, s[0:1], v12, v4
	v_addc_co_u32_e64 v80, s[0:1], v13, v5, s[0:1]
	v_lshlrev_b64 v[4:5], 4, v[7:8]
	v_add_co_u32_e64 v81, s[0:1], v12, v4
	v_addc_co_u32_e64 v82, s[0:1], v13, v5, s[0:1]
	global_load_dwordx4 v[20:23], v[0:1], off
	global_load_dwordx4 v[56:59], v[28:29], off
	;; [unrolled: 1-line block ×13, first 2 shown]
.LBB0_11:
	s_or_b64 exec, exec, s[14:15]
	v_mov_b32_e32 v149, v150
.LBB0_12:
	s_or_b64 exec, exec, s[6:7]
	s_waitcnt vmcnt(0)
	v_add_f64 v[77:78], v[4:5], v[56:57]
	s_mov_b32 s8, 0xb2365da1
	s_mov_b32 s9, 0xbfd6b1d8
	v_add_f64 v[79:80], v[58:59], -v[6:7]
	v_add_f64 v[81:82], v[8:9], v[52:53]
	s_mov_b32 s14, 0x2ef20147
	s_mov_b32 s6, 0xd0032e0c
	;; [unrolled: 1-line block ×3, first 2 shown]
	v_mul_f64 v[125:126], v[77:78], s[8:9]
	s_mov_b32 s7, 0xbfe7f3cc
	v_add_f64 v[87:88], v[54:55], -v[10:11]
	v_add_f64 v[89:90], v[12:13], v[48:49]
	v_mul_f64 v[127:128], v[81:82], s[6:7]
	s_mov_b32 s26, 0x24c2f84
	s_mov_b32 s16, 0xe00740e9
	;; [unrolled: 1-line block ×3, first 2 shown]
	v_fma_f64 v[0:1], v[79:80], s[14:15], v[125:126]
	s_mov_b32 s17, 0x3fec55a7
	v_add_f64 v[93:94], v[50:51], -v[14:15]
	v_mul_f64 v[133:134], v[89:90], s[16:17]
	v_fma_f64 v[28:29], v[87:88], s[26:27], v[127:128]
	v_add_f64 v[95:96], v[16:17], v[44:45]
	v_add_f64 v[99:100], v[56:57], -v[4:5]
	s_mov_b32 s18, 0x4267c47c
	v_add_f64 v[0:1], v[20:21], v[0:1]
	s_mov_b32 s20, 0xebaa3ed8
	s_mov_b32 s19, 0xbfddbe06
	;; [unrolled: 1-line block ×5, first 2 shown]
	v_add_f64 v[107:108], v[46:47], -v[18:19]
	v_mul_f64 v[137:138], v[95:96], s[20:21]
	v_add_f64 v[0:1], v[28:29], v[0:1]
	v_fma_f64 v[28:29], v[93:94], s[30:31], v[133:134]
	v_add_f64 v[83:84], v[6:7], v[58:59]
	v_mul_f64 v[131:132], v[99:100], s[14:15]
	v_add_f64 v[103:104], v[52:53], -v[8:9]
	s_mov_b32 s22, 0x66966769
	s_mov_b32 s23, 0xbfefc445
	v_add_f64 v[85:86], v[10:11], v[54:55]
	v_add_f64 v[97:98], v[48:49], -v[12:13]
	v_add_f64 v[0:1], v[28:29], v[0:1]
	v_fma_f64 v[28:29], v[107:108], s[22:23], v[137:138]
	v_fma_f64 v[2:3], v[83:84], s[8:9], -v[131:132]
	v_mul_f64 v[129:130], v[103:104], s[26:27]
	s_mov_b32 s35, 0xbfe5384d
	s_mov_b32 s34, s26
	v_mul_f64 v[60:61], v[99:100], s[34:35]
	v_add_f64 v[91:92], v[14:15], v[50:51]
	v_mul_f64 v[135:136], v[97:98], s[30:31]
	v_add_f64 v[0:1], v[28:29], v[0:1]
	;; [unrolled: 2-line block ×3, first 2 shown]
	v_fma_f64 v[30:31], v[85:86], s[6:7], -v[129:130]
	v_add_f64 v[111:112], v[44:45], -v[16:17]
	s_mov_b32 s43, 0x3fefc445
	s_mov_b32 s42, s22
	v_mul_f64 v[66:67], v[81:82], s[20:21]
	v_fma_f64 v[68:69], v[83:84], s[6:7], v[60:61]
	v_fma_f64 v[64:65], v[79:80], s[26:27], v[28:29]
	v_mul_f64 v[70:71], v[103:104], s[42:43]
	v_add_f64 v[2:3], v[30:31], v[2:3]
	v_fma_f64 v[30:31], v[91:92], s[16:17], -v[135:136]
	v_add_f64 v[101:102], v[18:19], v[46:47]
	v_add_f64 v[105:106], v[24:25], v[40:41]
	v_mul_f64 v[139:140], v[111:112], s[22:23]
	v_add_f64 v[115:116], v[40:41], -v[24:25]
	s_mov_b32 s28, 0x1ea71119
	s_mov_b32 s46, 0x42a4c3d2
	;; [unrolled: 1-line block ×10, first 2 shown]
	v_add_f64 v[64:65], v[20:21], v[64:65]
	v_fma_f64 v[151:152], v[87:88], s[22:23], v[66:67]
	v_add_f64 v[68:69], v[22:23], v[68:69]
	v_fma_f64 v[153:154], v[85:86], s[20:21], v[70:71]
	v_mul_f64 v[155:156], v[89:90], s[28:29]
	v_mul_f64 v[157:158], v[97:98], s[36:37]
	v_add_f64 v[2:3], v[30:31], v[2:3]
	v_add_f64 v[113:114], v[42:43], -v[26:27]
	v_mul_f64 v[141:142], v[105:106], s[24:25]
	v_fma_f64 v[30:31], v[101:102], s[20:21], -v[139:140]
	v_add_f64 v[109:110], v[26:27], v[42:43]
	v_mul_f64 v[143:144], v[115:116], s[44:45]
	v_add_f64 v[117:118], v[32:33], v[36:37]
	v_add_f64 v[121:122], v[36:37], -v[32:33]
	v_add_f64 v[64:65], v[151:152], v[64:65]
	v_add_f64 v[68:69], v[153:154], v[68:69]
	v_fma_f64 v[151:152], v[93:94], s[46:47], v[155:156]
	v_fma_f64 v[153:154], v[91:92], s[28:29], v[157:158]
	v_mul_f64 v[159:160], v[95:96], s[24:25]
	v_mul_f64 v[161:162], v[111:112], s[44:45]
	v_fma_f64 v[62:63], v[113:114], s[44:45], v[141:142]
	v_add_f64 v[2:3], v[30:31], v[2:3]
	v_fma_f64 v[30:31], v[109:110], s[24:25], -v[143:144]
	v_add_f64 v[123:124], v[38:39], -v[34:35]
	v_mul_f64 v[145:146], v[117:118], s[28:29]
	v_fma_f64 v[28:29], v[79:80], s[34:35], v[28:29]
	v_fma_f64 v[60:61], v[83:84], s[6:7], -v[60:61]
	s_mov_b32 s39, 0xbfcea1e5
	s_mov_b32 s38, s44
	v_add_f64 v[119:120], v[34:35], v[38:39]
	v_mul_f64 v[147:148], v[121:122], s[46:47]
	v_add_f64 v[64:65], v[151:152], v[64:65]
	v_add_f64 v[68:69], v[153:154], v[68:69]
	v_fma_f64 v[151:152], v[107:108], s[38:39], v[159:160]
	v_fma_f64 v[153:154], v[101:102], s[24:25], v[161:162]
	v_mul_f64 v[163:164], v[105:106], s[16:17]
	v_mul_f64 v[165:166], v[115:116], s[30:31]
	v_add_f64 v[0:1], v[62:63], v[0:1]
	v_add_f64 v[2:3], v[30:31], v[2:3]
	v_fma_f64 v[30:31], v[123:124], s[46:47], v[145:146]
	v_add_f64 v[167:168], v[20:21], v[28:29]
	v_fma_f64 v[66:67], v[87:88], s[42:43], v[66:67]
	v_add_f64 v[60:61], v[22:23], v[60:61]
	v_fma_f64 v[70:71], v[85:86], s[20:21], -v[70:71]
	v_fma_f64 v[62:63], v[119:120], s[28:29], -v[147:148]
	v_add_f64 v[64:65], v[151:152], v[64:65]
	v_add_f64 v[68:69], v[153:154], v[68:69]
	v_fma_f64 v[151:152], v[113:114], s[18:19], v[163:164]
	v_fma_f64 v[153:154], v[109:110], s[16:17], v[165:166]
	v_add_f64 v[28:29], v[30:31], v[0:1]
	v_add_f64 v[0:1], v[66:67], v[167:168]
	v_fma_f64 v[66:67], v[93:94], s[36:37], v[155:156]
	v_add_f64 v[60:61], v[70:71], v[60:61]
	v_fma_f64 v[70:71], v[91:92], s[28:29], -v[157:158]
	v_add_f64 v[30:31], v[62:63], v[2:3]
	v_add_f64 v[2:3], v[151:152], v[64:65]
	;; [unrolled: 1-line block ×3, first 2 shown]
	v_mul_f64 v[64:65], v[117:118], s[8:9]
	v_mul_f64 v[68:69], v[121:122], s[14:15]
	v_add_f64 v[0:1], v[66:67], v[0:1]
	v_fma_f64 v[66:67], v[107:108], s[44:45], v[159:160]
	v_add_f64 v[60:61], v[70:71], v[60:61]
	v_fma_f64 v[70:71], v[101:102], s[24:25], -v[161:162]
	s_mov_b32 s49, 0x3fedeba7
	s_mov_b32 s48, s14
	v_fma_f64 v[151:152], v[123:124], s[48:49], v[64:65]
	v_mul_f64 v[153:154], v[77:78], s[24:25]
	v_fma_f64 v[155:156], v[119:120], s[8:9], v[68:69]
	v_add_f64 v[66:67], v[66:67], v[0:1]
	v_mul_f64 v[157:158], v[99:100], s[38:39]
	v_add_f64 v[60:61], v[70:71], v[60:61]
	v_fma_f64 v[70:71], v[113:114], s[30:31], v[163:164]
	v_fma_f64 v[159:160], v[109:110], s[16:17], -v[165:166]
	v_add_f64 v[0:1], v[151:152], v[2:3]
	v_fma_f64 v[151:152], v[79:80], s[44:45], v[153:154]
	v_add_f64 v[2:3], v[155:156], v[62:63]
	v_mul_f64 v[62:63], v[81:82], s[16:17]
	v_fma_f64 v[155:156], v[83:84], s[24:25], v[157:158]
	v_mul_f64 v[161:162], v[103:104], s[30:31]
	v_add_f64 v[66:67], v[70:71], v[66:67]
	v_fma_f64 v[70:71], v[79:80], s[38:39], v[153:154]
	v_fma_f64 v[153:154], v[83:84], s[24:25], -v[157:158]
	v_add_f64 v[151:152], v[20:21], v[151:152]
	v_mul_f64 v[163:164], v[89:90], s[6:7]
	v_fma_f64 v[157:158], v[87:88], s[18:19], v[62:63]
	v_add_f64 v[60:61], v[159:160], v[60:61]
	v_add_f64 v[155:156], v[22:23], v[155:156]
	v_fma_f64 v[159:160], v[85:86], s[16:17], v[161:162]
	v_mul_f64 v[165:166], v[97:98], s[34:35]
	v_add_f64 v[70:71], v[20:21], v[70:71]
	v_fma_f64 v[62:63], v[87:88], s[30:31], v[62:63]
	v_add_f64 v[153:154], v[22:23], v[153:154]
	v_fma_f64 v[161:162], v[85:86], s[16:17], -v[161:162]
	v_add_f64 v[151:152], v[157:158], v[151:152]
	v_fma_f64 v[157:158], v[93:94], s[26:27], v[163:164]
	v_mul_f64 v[167:168], v[95:96], s[28:29]
	v_add_f64 v[155:156], v[159:160], v[155:156]
	v_fma_f64 v[159:160], v[91:92], s[6:7], v[165:166]
	v_mul_f64 v[169:170], v[111:112], s[46:47]
	v_add_f64 v[62:63], v[62:63], v[70:71]
	v_add_f64 v[70:71], v[161:162], v[153:154]
	v_fma_f64 v[153:154], v[93:94], s[34:35], v[163:164]
	v_fma_f64 v[161:162], v[91:92], s[6:7], -v[165:166]
	v_add_f64 v[151:152], v[157:158], v[151:152]
	v_fma_f64 v[157:158], v[107:108], s[36:37], v[167:168]
	v_mul_f64 v[163:164], v[105:106], s[8:9]
	v_add_f64 v[155:156], v[159:160], v[155:156]
	v_fma_f64 v[159:160], v[101:102], s[28:29], v[169:170]
	v_mul_f64 v[165:166], v[115:116], s[14:15]
	v_add_f64 v[62:63], v[153:154], v[62:63]
	v_add_f64 v[70:71], v[161:162], v[70:71]
	v_fma_f64 v[153:154], v[107:108], s[46:47], v[167:168]
	v_fma_f64 v[161:162], v[101:102], s[28:29], -v[169:170]
	v_add_f64 v[151:152], v[157:158], v[151:152]
	v_fma_f64 v[157:158], v[113:114], s[48:49], v[163:164]
	v_mul_f64 v[167:168], v[117:118], s[20:21]
	v_add_f64 v[155:156], v[159:160], v[155:156]
	v_fma_f64 v[159:160], v[109:110], s[8:9], v[165:166]
	v_mul_f64 v[169:170], v[121:122], s[42:43]
	v_add_f64 v[62:63], v[153:154], v[62:63]
	v_add_f64 v[70:71], v[161:162], v[70:71]
	v_fma_f64 v[153:154], v[113:114], s[14:15], v[163:164]
	v_fma_f64 v[161:162], v[109:110], s[8:9], -v[165:166]
	v_fma_f64 v[163:164], v[119:120], s[8:9], -v[68:69]
	v_add_f64 v[151:152], v[157:158], v[151:152]
	v_fma_f64 v[157:158], v[123:124], s[22:23], v[167:168]
	v_fma_f64 v[64:65], v[123:124], s[14:15], v[64:65]
	v_add_f64 v[155:156], v[159:160], v[155:156]
	v_fma_f64 v[159:160], v[119:120], s[20:21], v[169:170]
	v_add_f64 v[153:154], v[153:154], v[62:63]
	v_add_f64 v[161:162], v[161:162], v[70:71]
	v_fma_f64 v[165:166], v[123:124], s[42:43], v[167:168]
	v_fma_f64 v[167:168], v[119:120], s[20:21], -v[169:170]
	s_mov_b32 s0, 0xaaaaaaab
	v_add_f64 v[70:71], v[163:164], v[60:61]
	v_add_f64 v[60:61], v[157:158], v[151:152]
	v_mul_hi_u32 v151, v76, s0
	v_add_f64 v[68:69], v[64:65], v[66:67]
	v_add_f64 v[62:63], v[159:160], v[155:156]
	;; [unrolled: 1-line block ×4, first 2 shown]
	v_lshrrev_b32_e32 v151, 1, v151
	v_lshl_add_u32 v151, v151, 1, v151
	v_sub_u32_e32 v76, v76, v151
	v_mul_u32_u24_e32 v76, 0x249, v76
	v_cmp_gt_u32_e64 s[0:1], 45, v150
	v_lshlrev_b32_e32 v76, 4, v76
	s_and_saveexec_b64 s[40:41], s[0:1]
	s_cbranch_execz .LBB0_14
; %bb.13:
	v_mul_f64 v[151:152], v[83:84], s[8:9]
	v_mul_f64 v[153:154], v[79:80], s[14:15]
	v_mul_f64 v[155:156], v[87:88], s[26:27]
	v_mul_f64 v[157:158], v[85:86], s[6:7]
	v_mul_f64 v[175:176], v[99:100], s[22:23]
	v_mul_f64 v[161:162], v[91:92], s[16:17]
	v_mul_f64 v[165:166], v[101:102], s[20:21]
	v_mul_f64 v[177:178], v[103:104], s[38:39]
	v_add_f64 v[131:132], v[151:152], v[131:132]
	v_add_f64 v[125:126], v[125:126], -v[153:154]
	v_add_f64 v[127:128], v[127:128], -v[155:156]
	v_add_f64 v[129:130], v[157:158], v[129:130]
	v_fma_f64 v[155:156], v[83:84], s[20:21], -v[175:176]
	v_mul_f64 v[159:160], v[93:94], s[30:31]
	v_mul_f64 v[167:168], v[109:110], s[24:25]
	;; [unrolled: 1-line block ×3, first 2 shown]
	v_add_f64 v[131:132], v[22:23], v[131:132]
	v_add_f64 v[135:136], v[161:162], v[135:136]
	;; [unrolled: 1-line block ×3, first 2 shown]
	v_mul_f64 v[179:180], v[79:80], s[22:23]
	v_add_f64 v[155:156], v[22:23], v[155:156]
	v_mul_f64 v[151:152], v[113:114], s[44:45]
	v_mul_f64 v[171:172], v[119:120], s[28:29]
	;; [unrolled: 1-line block ×3, first 2 shown]
	v_add_f64 v[129:130], v[129:130], v[131:132]
	v_add_f64 v[131:132], v[165:166], v[139:140]
	v_fma_f64 v[139:140], v[85:86], s[24:25], -v[177:178]
	v_add_f64 v[133:134], v[133:134], -v[159:160]
	v_add_f64 v[125:126], v[127:128], v[125:126]
	v_add_f64 v[127:128], v[167:168], v[143:144]
	v_fma_f64 v[143:144], v[77:78], s[20:21], v[179:180]
	v_fma_f64 v[159:160], v[91:92], s[8:9], -v[157:158]
	v_add_f64 v[129:130], v[135:136], v[129:130]
	v_mul_f64 v[135:136], v[87:88], s[38:39]
	v_add_f64 v[139:140], v[139:140], v[155:156]
	v_mul_f64 v[173:174], v[115:116], s[36:37]
	v_mul_f64 v[161:162], v[93:94], s[48:49]
	v_add_f64 v[125:126], v[133:134], v[125:126]
	v_add_f64 v[133:134], v[141:142], -v[151:152]
	v_add_f64 v[143:144], v[20:21], v[143:144]
	v_add_f64 v[129:130], v[131:132], v[129:130]
	;; [unrolled: 1-line block ×3, first 2 shown]
	v_fma_f64 v[141:142], v[81:82], s[24:25], v[135:136]
	v_fma_f64 v[147:148], v[101:102], s[16:17], -v[153:154]
	v_add_f64 v[139:140], v[159:160], v[139:140]
	v_mul_f64 v[163:164], v[107:108], s[22:23]
	v_fma_f64 v[151:152], v[89:90], s[8:9], v[161:162]
	v_mul_f64 v[169:170], v[123:124], s[46:47]
	v_add_f64 v[127:128], v[127:128], v[129:130]
	v_mul_f64 v[129:130], v[121:122], s[34:35]
	v_add_f64 v[141:142], v[141:142], v[143:144]
	v_fma_f64 v[143:144], v[109:110], s[28:29], -v[173:174]
	v_add_f64 v[139:140], v[147:148], v[139:140]
	v_add_f64 v[137:138], v[137:138], -v[163:164]
	v_fma_f64 v[155:156], v[83:84], s[20:21], v[175:176]
	v_add_f64 v[145:146], v[145:146], -v[169:170]
	v_add_f64 v[127:128], v[131:132], v[127:128]
	v_fma_f64 v[163:164], v[85:86], s[24:25], v[177:178]
	v_add_f64 v[141:142], v[151:152], v[141:142]
	v_fma_f64 v[151:152], v[119:120], s[6:7], -v[129:130]
	v_add_f64 v[139:140], v[143:144], v[139:140]
	v_add_f64 v[125:126], v[137:138], v[125:126]
	v_mul_f64 v[137:138], v[107:108], s[30:31]
	v_add_f64 v[155:156], v[22:23], v[155:156]
	v_fma_f64 v[135:136], v[81:82], s[24:25], -v[135:136]
	v_add_f64 v[58:59], v[58:59], v[22:23]
	v_add_f64 v[56:57], v[56:57], v[20:21]
	v_fma_f64 v[161:162], v[89:90], s[8:9], -v[161:162]
	v_add_f64 v[131:132], v[151:152], v[139:140]
	v_fma_f64 v[151:152], v[77:78], s[20:21], -v[179:180]
	v_add_f64 v[125:126], v[133:134], v[125:126]
	v_mul_f64 v[133:134], v[113:114], s[36:37]
	v_fma_f64 v[147:148], v[95:96], s[16:17], v[137:138]
	v_add_f64 v[155:156], v[163:164], v[155:156]
	v_add_f64 v[54:55], v[54:55], v[58:59]
	;; [unrolled: 1-line block ×3, first 2 shown]
	v_mul_f64 v[143:144], v[123:124], s[34:35]
	v_add_f64 v[151:152], v[20:21], v[151:152]
	v_add_f64 v[125:126], v[145:146], v[125:126]
	v_fma_f64 v[159:160], v[105:106], s[28:29], v[133:134]
	v_add_f64 v[141:142], v[147:148], v[141:142]
	v_mul_f64 v[145:146], v[99:100], s[36:37]
	v_fma_f64 v[147:148], v[91:92], s[8:9], v[157:158]
	v_fma_f64 v[157:158], v[119:120], s[6:7], v[129:130]
	;; [unrolled: 1-line block ×3, first 2 shown]
	v_add_f64 v[135:136], v[135:136], v[151:152]
	v_mul_f64 v[153:154], v[103:104], s[14:15]
	v_fma_f64 v[137:138], v[95:96], s[16:17], -v[137:138]
	v_add_f64 v[141:142], v[159:160], v[141:142]
	v_fma_f64 v[159:160], v[83:84], s[28:29], -v[145:146]
	v_add_f64 v[147:148], v[147:148], v[155:156]
	v_add_f64 v[50:51], v[50:51], v[54:55]
	;; [unrolled: 1-line block ×4, first 2 shown]
	v_fma_f64 v[139:140], v[117:118], s[6:7], v[143:144]
	v_fma_f64 v[155:156], v[109:110], s[28:29], v[173:174]
	v_mul_f64 v[163:164], v[79:80], s[36:37]
	v_mul_f64 v[165:166], v[97:98], s[38:39]
	v_fma_f64 v[167:168], v[85:86], s[8:9], -v[153:154]
	v_add_f64 v[159:160], v[22:23], v[159:160]
	v_add_f64 v[129:130], v[129:130], v[147:148]
	v_fma_f64 v[133:134], v[105:106], s[28:29], -v[133:134]
	v_add_f64 v[135:136], v[137:138], v[135:136]
	v_add_f64 v[46:47], v[46:47], v[50:51]
	;; [unrolled: 1-line block ×3, first 2 shown]
	v_mul_f64 v[147:148], v[87:88], s[14:15]
	v_fma_f64 v[151:152], v[77:78], s[28:29], v[163:164]
	v_mul_f64 v[169:170], v[111:112], s[26:27]
	v_fma_f64 v[171:172], v[91:92], s[24:25], -v[165:166]
	v_add_f64 v[159:160], v[167:168], v[159:160]
	v_add_f64 v[155:156], v[155:156], v[129:130]
	v_fma_f64 v[143:144], v[117:118], s[6:7], -v[143:144]
	v_add_f64 v[133:134], v[133:134], v[135:136]
	v_add_f64 v[129:130], v[139:140], v[141:142]
	v_fma_f64 v[141:142], v[83:84], s[28:29], v[145:146]
	v_add_f64 v[42:43], v[42:43], v[46:47]
	v_add_f64 v[40:41], v[40:41], v[48:49]
	v_mul_f64 v[161:162], v[93:94], s[38:39]
	v_fma_f64 v[167:168], v[81:82], s[8:9], v[147:148]
	v_add_f64 v[151:152], v[20:21], v[151:152]
	v_mul_f64 v[173:174], v[115:116], s[42:43]
	v_fma_f64 v[175:176], v[101:102], s[6:7], -v[169:170]
	v_add_f64 v[159:160], v[171:172], v[159:160]
	v_add_f64 v[135:136], v[157:158], v[155:156]
	;; [unrolled: 1-line block ×3, first 2 shown]
	v_fma_f64 v[143:144], v[85:86], s[8:9], v[153:154]
	v_add_f64 v[141:142], v[22:23], v[141:142]
	v_fma_f64 v[155:156], v[77:78], s[28:29], -v[163:164]
	v_mul_f64 v[99:100], v[99:100], s[18:19]
	v_mul_f64 v[46:47], v[79:80], s[18:19]
	v_add_f64 v[38:39], v[38:39], v[42:43]
	v_add_f64 v[36:37], v[36:37], v[40:41]
	v_fma_f64 v[171:172], v[89:90], s[24:25], v[161:162]
	v_add_f64 v[151:152], v[167:168], v[151:152]
	v_mul_f64 v[167:168], v[121:122], s[30:31]
	v_fma_f64 v[177:178], v[109:110], s[20:21], -v[173:174]
	v_add_f64 v[159:160], v[175:176], v[159:160]
	v_fma_f64 v[163:164], v[91:92], s[24:25], v[165:166]
	v_add_f64 v[141:142], v[143:144], v[141:142]
	v_fma_f64 v[143:144], v[81:82], s[8:9], -v[147:148]
	v_add_f64 v[147:148], v[20:21], v[155:156]
	v_mul_f64 v[103:104], v[103:104], s[36:37]
	v_fma_f64 v[165:166], v[83:84], s[16:17], -v[99:100]
	v_fma_f64 v[83:84], v[83:84], s[16:17], v[99:100]
	v_mul_f64 v[87:88], v[87:88], s[36:37]
	v_fma_f64 v[40:41], v[77:78], s[16:17], -v[46:47]
	v_fma_f64 v[46:47], v[77:78], s[16:17], v[46:47]
	v_add_f64 v[34:35], v[34:35], v[38:39]
	v_add_f64 v[32:33], v[32:33], v[36:37]
	v_mul_f64 v[137:138], v[107:108], s[26:27]
	v_add_f64 v[151:152], v[171:172], v[151:152]
	v_fma_f64 v[171:172], v[119:120], s[16:17], -v[167:168]
	v_add_f64 v[159:160], v[177:178], v[159:160]
	v_fma_f64 v[155:156], v[101:102], s[6:7], v[169:170]
	v_add_f64 v[141:142], v[163:164], v[141:142]
	v_fma_f64 v[161:162], v[89:90], s[24:25], -v[161:162]
	v_add_f64 v[143:144], v[143:144], v[147:148]
	v_mul_f64 v[97:98], v[97:98], s[22:23]
	v_add_f64 v[163:164], v[22:23], v[165:166]
	v_mul_f64 v[42:43], v[93:94], s[22:23]
	v_fma_f64 v[77:78], v[85:86], s[28:29], v[103:104]
	v_add_f64 v[22:23], v[22:23], v[83:84]
	v_fma_f64 v[83:84], v[81:82], s[28:29], -v[87:88]
	v_add_f64 v[36:37], v[20:21], v[40:41]
	v_fma_f64 v[147:148], v[85:86], s[28:29], -v[103:104]
	v_fma_f64 v[38:39], v[81:82], s[28:29], v[87:88]
	v_add_f64 v[20:21], v[20:21], v[46:47]
	v_add_f64 v[26:27], v[26:27], v[34:35]
	v_add_f64 v[24:25], v[24:25], v[32:33]
	v_mul_f64 v[175:176], v[113:114], s[42:43]
	v_fma_f64 v[179:180], v[95:96], s[6:7], v[137:138]
	v_add_f64 v[139:140], v[171:172], v[159:160]
	v_fma_f64 v[159:160], v[109:110], s[20:21], v[173:174]
	v_add_f64 v[56:57], v[155:156], v[141:142]
	v_fma_f64 v[58:59], v[95:96], s[6:7], -v[137:138]
	v_add_f64 v[137:138], v[161:162], v[143:144]
	v_mul_f64 v[111:112], v[111:112], s[14:15]
	v_mul_f64 v[107:108], v[107:108], s[14:15]
	v_fma_f64 v[40:41], v[91:92], s[20:21], v[97:98]
	v_add_f64 v[22:23], v[77:78], v[22:23]
	v_fma_f64 v[46:47], v[89:90], s[20:21], -v[42:43]
	v_add_f64 v[32:33], v[83:84], v[36:37]
	v_fma_f64 v[141:142], v[91:92], s[20:21], -v[97:98]
	v_add_f64 v[143:144], v[147:148], v[163:164]
	v_fma_f64 v[34:35], v[89:90], s[20:21], v[42:43]
	v_add_f64 v[20:21], v[38:39], v[20:21]
	v_add_f64 v[18:19], v[18:19], v[26:27]
	;; [unrolled: 1-line block ×3, first 2 shown]
	v_fma_f64 v[157:158], v[119:120], s[16:17], v[167:168]
	v_add_f64 v[52:53], v[159:160], v[56:57]
	v_fma_f64 v[54:55], v[105:106], s[20:21], -v[175:176]
	v_add_f64 v[56:57], v[58:59], v[137:138]
	v_mul_f64 v[58:59], v[115:116], s[34:35]
	v_mul_f64 v[79:80], v[113:114], s[34:35]
	v_fma_f64 v[36:37], v[101:102], s[8:9], v[111:112]
	v_add_f64 v[22:23], v[40:41], v[22:23]
	v_fma_f64 v[38:39], v[95:96], s[8:9], -v[107:108]
	v_add_f64 v[24:25], v[46:47], v[32:33]
	v_fma_f64 v[115:116], v[101:102], s[8:9], -v[111:112]
	v_add_f64 v[137:138], v[141:142], v[143:144]
	v_fma_f64 v[26:27], v[95:96], s[8:9], v[107:108]
	v_add_f64 v[20:21], v[34:35], v[20:21]
	v_add_f64 v[14:15], v[14:15], v[18:19]
	;; [unrolled: 1-line block ×5, first 2 shown]
	v_mul_f64 v[54:55], v[121:122], s[38:39]
	v_mul_f64 v[48:49], v[123:124], s[38:39]
	v_fma_f64 v[32:33], v[109:110], s[6:7], v[58:59]
	v_add_f64 v[22:23], v[36:37], v[22:23]
	v_fma_f64 v[34:35], v[105:106], s[6:7], -v[79:80]
	v_add_f64 v[16:17], v[38:39], v[24:25]
	v_mul_f64 v[145:146], v[123:124], s[30:31]
	v_fma_f64 v[177:178], v[105:106], s[20:21], v[175:176]
	v_add_f64 v[151:152], v[179:180], v[151:152]
	v_fma_f64 v[56:57], v[109:110], s[6:7], -v[58:59]
	v_add_f64 v[115:116], v[115:116], v[137:138]
	v_fma_f64 v[18:19], v[105:106], s[6:7], v[79:80]
	v_add_f64 v[20:21], v[26:27], v[20:21]
	v_add_f64 v[10:11], v[10:11], v[14:15]
	;; [unrolled: 1-line block ×3, first 2 shown]
	v_fma_f64 v[24:25], v[119:120], s[24:25], v[54:55]
	v_add_f64 v[22:23], v[32:33], v[22:23]
	v_fma_f64 v[26:27], v[117:118], s[24:25], -v[48:49]
	v_add_f64 v[16:17], v[34:35], v[16:17]
	v_fma_f64 v[50:51], v[117:118], s[16:17], -v[145:146]
	v_fma_f64 v[153:154], v[117:118], s[16:17], v[145:146]
	v_add_f64 v[151:152], v[177:178], v[151:152]
	v_fma_f64 v[32:33], v[119:120], s[24:25], -v[54:55]
	v_add_f64 v[34:35], v[56:57], v[115:116]
	v_fma_f64 v[36:37], v[117:118], s[24:25], v[48:49]
	v_add_f64 v[18:19], v[18:19], v[20:21]
	v_add_f64 v[12:13], v[6:7], v[10:11]
	;; [unrolled: 1-line block ×6, first 2 shown]
	v_mul_u32_u24_e32 v4, 0xd0, v150
	v_add3_u32 v4, 0, v4, v76
	v_add_f64 v[137:138], v[153:154], v[151:152]
	v_add_f64 v[16:17], v[32:33], v[34:35]
	;; [unrolled: 1-line block ×3, first 2 shown]
	ds_write_b128 v4, v[10:13]
	ds_write_b128 v4, v[6:9] offset:16
	ds_write_b128 v4, v[42:45] offset:32
	;; [unrolled: 1-line block ×12, first 2 shown]
.LBB0_14:
	s_or_b64 exec, exec, s[40:41]
	v_lshlrev_b32_e32 v4, 4, v150
	v_add3_u32 v24, 0, v76, v4
	s_waitcnt lgkmcnt(0)
	s_barrier
	v_add3_u32 v25, 0, v4, v76
	ds_read_b128 v[4:7], v24
	ds_read_b128 v[20:23], v25 offset:1872
	ds_read_b128 v[16:19], v25 offset:3744
	ds_read_b128 v[12:15], v25 offset:5616
	ds_read_b128 v[8:11], v25 offset:7488
	v_cmp_gt_u32_e64 s[0:1], 52, v150
	s_and_saveexec_b64 s[6:7], s[0:1]
	s_cbranch_execz .LBB0_16
; %bb.15:
	ds_read_b128 v[0:3], v25 offset:1040
	ds_read_b128 v[60:63], v25 offset:2912
	;; [unrolled: 1-line block ×5, first 2 shown]
.LBB0_16:
	s_or_b64 exec, exec, s[6:7]
	s_movk_i32 s23, 0x4f
	v_mul_lo_u16_sdwa v26, v150, s23 dst_sel:DWORD dst_unused:UNUSED_PAD src0_sel:BYTE_0 src1_sel:DWORD
	v_lshrrev_b16_e32 v56, 10, v26
	v_mul_lo_u16_e32 v26, 13, v56
	v_sub_u16_e32 v57, v150, v26
	v_mov_b32_e32 v27, 6
	v_lshlrev_b32_sdwa v26, v27, v57 dst_sel:DWORD dst_unused:UNUSED_PAD src0_sel:DWORD src1_sel:BYTE_0
	global_load_dwordx4 v[32:35], v26, s[12:13]
	global_load_dwordx4 v[36:39], v26, s[12:13] offset:16
	global_load_dwordx4 v[40:43], v26, s[12:13] offset:32
	;; [unrolled: 1-line block ×3, first 2 shown]
	s_movk_i32 s22, 0x410
	v_mov_b32_e32 v26, 4
	v_mad_u32_u24 v81, v56, s22, 0
	v_lshlrev_b32_sdwa v82, v26, v57 dst_sel:DWORD dst_unused:UNUSED_PAD src0_sel:DWORD src1_sel:BYTE_0
	s_mov_b32 s14, 0x134454ff
	s_mov_b32 s15, 0x3fee6f0e
	;; [unrolled: 1-line block ×10, first 2 shown]
	s_waitcnt vmcnt(0) lgkmcnt(0)
	s_barrier
	v_mul_f64 v[48:49], v[22:23], v[34:35]
	v_mul_f64 v[34:35], v[20:21], v[34:35]
	;; [unrolled: 1-line block ×8, first 2 shown]
	v_fma_f64 v[20:21], v[20:21], v[32:33], -v[48:49]
	v_fma_f64 v[22:23], v[22:23], v[32:33], v[34:35]
	v_fma_f64 v[16:17], v[16:17], v[36:37], -v[50:51]
	v_fma_f64 v[18:19], v[18:19], v[36:37], v[38:39]
	;; [unrolled: 2-line block ×3, first 2 shown]
	v_fma_f64 v[14:15], v[14:15], v[40:41], v[42:43]
	v_fma_f64 v[8:9], v[8:9], v[44:45], -v[46:47]
	v_add_f64 v[32:33], v[4:5], v[20:21]
	v_add_f64 v[50:51], v[6:7], v[22:23]
	v_add_f64 v[40:41], v[20:21], -v[16:17]
	v_add_f64 v[46:47], v[16:17], -v[20:21]
	v_add_f64 v[34:35], v[16:17], v[12:13]
	v_add_f64 v[77:78], v[22:23], v[10:11]
	;; [unrolled: 1-line block ×3, first 2 shown]
	v_add_f64 v[42:43], v[8:9], -v[12:13]
	v_add_f64 v[44:45], v[20:21], v[8:9]
	v_add_f64 v[36:37], v[22:23], -v[10:11]
	v_add_f64 v[38:39], v[18:19], -v[14:15]
	;; [unrolled: 1-line block ×6, first 2 shown]
	v_add_f64 v[16:17], v[32:33], v[16:17]
	v_fma_f64 v[32:33], v[34:35], -0.5, v[4:5]
	v_add_f64 v[34:35], v[40:41], v[42:43]
	v_add_f64 v[18:19], v[50:51], v[18:19]
	v_fma_f64 v[42:43], v[52:53], -0.5, v[6:7]
	v_add_f64 v[48:49], v[12:13], -v[8:9]
	v_fma_f64 v[4:5], v[44:45], -0.5, v[4:5]
	v_fma_f64 v[6:7], v[77:78], -0.5, v[6:7]
	v_add_f64 v[58:59], v[10:11], -v[14:15]
	v_add_f64 v[79:80], v[14:15], -v[10:11]
	v_add_f64 v[12:13], v[16:17], v[12:13]
	v_fma_f64 v[16:17], v[36:37], s[14:15], v[32:33]
	v_add_f64 v[14:15], v[18:19], v[14:15]
	v_fma_f64 v[18:19], v[20:21], s[18:19], v[42:43]
	;; [unrolled: 2-line block ×3, first 2 shown]
	v_fma_f64 v[50:51], v[54:55], s[14:15], v[6:7]
	v_fma_f64 v[32:33], v[36:37], s[18:19], v[32:33]
	;; [unrolled: 1-line block ×5, first 2 shown]
	v_add_f64 v[44:45], v[56:57], v[58:59]
	v_add_f64 v[4:5], v[12:13], v[8:9]
	v_fma_f64 v[8:9], v[38:39], s[8:9], v[16:17]
	v_add_f64 v[6:7], v[14:15], v[10:11]
	v_fma_f64 v[10:11], v[54:55], s[16:17], v[18:19]
	;; [unrolled: 2-line block ×3, first 2 shown]
	v_fma_f64 v[14:15], v[20:21], s[16:17], v[50:51]
	v_fma_f64 v[12:13], v[38:39], s[16:17], v[32:33]
	;; [unrolled: 1-line block ×13, first 2 shown]
	v_add3_u32 v32, v81, v82, v76
	ds_write_b128 v32, v[4:7]
	ds_write_b128 v32, v[8:11] offset:208
	ds_write_b128 v32, v[16:19] offset:416
	;; [unrolled: 1-line block ×4, first 2 shown]
	s_and_saveexec_b64 s[20:21], s[0:1]
	s_cbranch_execz .LBB0_18
; %bb.17:
	v_add_u16_e32 v4, 0x41, v150
	v_mul_lo_u16_sdwa v5, v4, s23 dst_sel:DWORD dst_unused:UNUSED_PAD src0_sel:BYTE_0 src1_sel:DWORD
	v_lshrrev_b16_e32 v56, 10, v5
	v_mul_lo_u16_e32 v5, 13, v56
	v_sub_u16_e32 v57, v4, v5
	v_lshlrev_b32_sdwa v20, v27, v57 dst_sel:DWORD dst_unused:UNUSED_PAD src0_sel:DWORD src1_sel:BYTE_0
	global_load_dwordx4 v[4:7], v20, s[12:13] offset:16
	global_load_dwordx4 v[8:11], v20, s[12:13]
	global_load_dwordx4 v[12:15], v20, s[12:13] offset:32
	global_load_dwordx4 v[16:19], v20, s[12:13] offset:48
	s_waitcnt vmcnt(3)
	v_mul_f64 v[20:21], v[64:65], v[6:7]
	s_waitcnt vmcnt(2)
	v_mul_f64 v[22:23], v[60:61], v[10:11]
	;; [unrolled: 2-line block ×4, first 2 shown]
	v_mul_f64 v[10:11], v[62:63], v[10:11]
	v_mul_f64 v[18:19], v[30:31], v[18:19]
	;; [unrolled: 1-line block ×4, first 2 shown]
	v_fma_f64 v[20:21], v[66:67], v[4:5], v[20:21]
	v_fma_f64 v[22:23], v[62:63], v[8:9], v[22:23]
	;; [unrolled: 1-line block ×4, first 2 shown]
	v_fma_f64 v[8:9], v[60:61], v[8:9], -v[10:11]
	v_fma_f64 v[10:11], v[28:29], v[16:17], -v[18:19]
	;; [unrolled: 1-line block ×4, first 2 shown]
	v_add_f64 v[12:13], v[20:21], -v[22:23]
	v_add_f64 v[34:35], v[22:23], -v[20:21]
	;; [unrolled: 1-line block ×3, first 2 shown]
	v_add_f64 v[18:19], v[22:23], v[30:31]
	v_add_f64 v[36:37], v[30:31], -v[32:33]
	v_add_f64 v[38:39], v[20:21], v[32:33]
	v_add_f64 v[48:49], v[8:9], v[10:11]
	;; [unrolled: 1-line block ×4, first 2 shown]
	v_add_f64 v[16:17], v[8:9], -v[10:11]
	v_add_f64 v[42:43], v[4:5], -v[8:9]
	;; [unrolled: 1-line block ×3, first 2 shown]
	v_add_f64 v[8:9], v[0:1], v[8:9]
	v_add_f64 v[27:28], v[4:5], -v[6:7]
	v_add_f64 v[44:45], v[6:7], -v[10:11]
	;; [unrolled: 1-line block ×3, first 2 shown]
	v_add_f64 v[12:13], v[12:13], v[14:15]
	v_fma_f64 v[14:15], v[18:19], -0.5, v[2:3]
	v_add_f64 v[18:19], v[34:35], v[36:37]
	v_fma_f64 v[2:3], v[38:39], -0.5, v[2:3]
	v_fma_f64 v[36:37], v[48:49], -0.5, v[0:1]
	;; [unrolled: 1-line block ×3, first 2 shown]
	v_add_f64 v[46:47], v[20:21], -v[32:33]
	v_add_f64 v[20:21], v[40:41], v[20:21]
	v_add_f64 v[4:5], v[8:9], v[4:5]
	v_add_f64 v[52:53], v[10:11], -v[6:7]
	v_add_f64 v[34:35], v[42:43], v[44:45]
	v_fma_f64 v[8:9], v[27:28], s[18:19], v[14:15]
	v_fma_f64 v[14:15], v[27:28], s[14:15], v[14:15]
	;; [unrolled: 1-line block ×6, first 2 shown]
	v_add_f64 v[20:21], v[20:21], v[32:33]
	v_fma_f64 v[32:33], v[46:47], s[14:15], v[36:37]
	v_fma_f64 v[36:37], v[46:47], s[18:19], v[36:37]
	v_add_f64 v[4:5], v[4:5], v[6:7]
	v_add_f64 v[38:39], v[50:51], v[52:53]
	v_fma_f64 v[6:7], v[16:17], s[8:9], v[8:9]
	v_fma_f64 v[8:9], v[16:17], s[16:17], v[14:15]
	;; [unrolled: 1-line block ×5, first 2 shown]
	v_add_f64 v[2:3], v[20:21], v[30:31]
	v_fma_f64 v[20:21], v[22:23], s[16:17], v[32:33]
	v_fma_f64 v[22:23], v[22:23], s[8:9], v[36:37]
	;; [unrolled: 1-line block ×3, first 2 shown]
	v_add_f64 v[0:1], v[4:5], v[10:11]
	v_fma_f64 v[14:15], v[18:19], s[6:7], v[14:15]
	v_fma_f64 v[18:19], v[18:19], s[6:7], v[16:17]
	;; [unrolled: 1-line block ×8, first 2 shown]
	v_mad_u32_u24 v20, v56, s22, 0
	v_lshlrev_b32_sdwa v21, v26, v57 dst_sel:DWORD dst_unused:UNUSED_PAD src0_sel:DWORD src1_sel:BYTE_0
	v_add3_u32 v20, v20, v21, v76
	ds_write_b128 v20, v[0:3]
	ds_write_b128 v20, v[16:19] offset:208
	ds_write_b128 v20, v[8:11] offset:416
	;; [unrolled: 1-line block ×4, first 2 shown]
.LBB0_18:
	s_or_b64 exec, exec, s[20:21]
	s_waitcnt lgkmcnt(0)
	s_barrier
	s_and_saveexec_b64 s[0:1], vcc
	s_cbranch_execz .LBB0_20
; %bb.19:
	v_lshlrev_b32_e32 v0, 3, v150
	v_mov_b32_e32 v1, 0
	v_lshlrev_b64 v[0:1], 4, v[0:1]
	v_mov_b32_e32 v2, s13
	v_add_co_u32_e32 v34, vcc, s12, v0
	v_addc_co_u32_e32 v35, vcc, v2, v1, vcc
	global_load_dwordx4 v[0:3], v[34:35], off offset:864
	global_load_dwordx4 v[4:7], v[34:35], off offset:912
	;; [unrolled: 1-line block ×8, first 2 shown]
	ds_read_b128 v[34:37], v25 offset:3120
	ds_read_b128 v[38:41], v25 offset:2080
	;; [unrolled: 1-line block ×7, first 2 shown]
	v_mul_lo_u32 v76, s5, v74
	v_mul_lo_u32 v75, s4, v75
	v_mad_u64_u32 v[70:71], s[0:1], s4, v74, 0
	ds_read_b128 v[62:65], v25 offset:1040
	ds_read_b128 v[66:69], v24
	s_mov_b32 s4, 0x8c811c17
	v_add3_u32 v71, v71, v75, v76
	s_mov_b32 s5, 0x3fef838b
	s_mov_b32 s16, 0xa2cf5039
	;; [unrolled: 1-line block ×15, first 2 shown]
	s_waitcnt vmcnt(7) lgkmcnt(8)
	v_mul_f64 v[24:25], v[2:3], v[36:37]
	s_waitcnt vmcnt(6) lgkmcnt(6)
	v_mul_f64 v[74:75], v[6:7], v[44:45]
	s_waitcnt vmcnt(5)
	v_mul_f64 v[76:77], v[10:11], v[40:41]
	s_waitcnt vmcnt(4) lgkmcnt(5)
	v_mul_f64 v[78:79], v[14:15], v[48:49]
	s_waitcnt vmcnt(3) lgkmcnt(4)
	;; [unrolled: 2-line block ×4, first 2 shown]
	v_mul_f64 v[84:85], v[28:29], v[64:65]
	s_waitcnt vmcnt(0)
	v_mul_f64 v[86:87], v[32:33], v[60:61]
	v_mul_f64 v[52:53], v[16:17], v[52:53]
	;; [unrolled: 1-line block ×9, first 2 shown]
	v_fma_f64 v[16:17], v[16:17], v[50:51], -v[80:81]
	v_fma_f64 v[20:21], v[20:21], v[54:55], -v[82:83]
	v_fma_f64 v[0:1], v[0:1], v[34:35], -v[24:25]
	v_fma_f64 v[8:9], v[8:9], v[38:39], -v[76:77]
	v_fma_f64 v[12:13], v[12:13], v[46:47], -v[78:79]
	v_fma_f64 v[24:25], v[26:27], v[62:63], -v[84:85]
	v_fma_f64 v[26:27], v[30:31], v[58:59], -v[86:87]
	v_fma_f64 v[18:19], v[50:51], v[18:19], v[52:53]
	v_fma_f64 v[22:23], v[54:55], v[22:23], v[56:57]
	;; [unrolled: 1-line block ×6, first 2 shown]
	v_fma_f64 v[4:5], v[4:5], v[42:43], -v[74:75]
	v_fma_f64 v[28:29], v[62:63], v[28:29], v[64:65]
	v_fma_f64 v[30:31], v[58:59], v[32:33], v[60:61]
	v_add_f64 v[36:37], v[16:17], -v[20:21]
	v_add_f64 v[52:53], v[18:19], -v[22:23]
	v_add_f64 v[42:43], v[10:11], v[14:15]
	v_add_f64 v[54:55], v[8:9], v[12:13]
	;; [unrolled: 1-line block ×3, first 2 shown]
	v_add_f64 v[48:49], v[2:3], -v[6:7]
	v_add_f64 v[2:3], v[24:25], v[26:27]
	v_add_f64 v[32:33], v[0:1], -v[4:5]
	v_add_f64 v[34:35], v[8:9], -v[12:13]
	v_add_f64 v[46:47], v[28:29], v[30:31]
	v_add_f64 v[4:5], v[0:1], v[4:5]
	v_mul_f64 v[0:1], v[36:37], s[4:5]
	v_add_f64 v[38:39], v[24:25], -v[26:27]
	v_add_f64 v[40:41], v[18:19], v[22:23]
	v_add_f64 v[50:51], v[10:11], -v[14:15]
	v_add_f64 v[24:25], v[16:17], v[20:21]
	s_waitcnt lgkmcnt(0)
	v_fma_f64 v[8:9], v[42:43], s[16:17], v[68:69]
	v_mul_f64 v[10:11], v[52:53], s[4:5]
	v_fma_f64 v[12:13], v[54:55], s[16:17], v[66:67]
	v_add_f64 v[26:27], v[54:55], v[2:3]
	v_add_f64 v[14:15], v[42:43], v[46:47]
	v_fma_f64 v[0:1], v[34:35], s[6:7], -v[0:1]
	v_mul_f64 v[60:61], v[36:37], s[6:7]
	v_add_f64 v[6:7], v[28:29], -v[30:31]
	v_fma_f64 v[8:9], v[40:41], s[12:13], v[8:9]
	v_fma_f64 v[10:11], v[50:51], s[6:7], -v[10:11]
	v_fma_f64 v[12:13], v[24:25], s[12:13], v[12:13]
	v_add_f64 v[82:83], v[4:5], v[26:27]
	v_add_f64 v[80:81], v[44:45], v[14:15]
	v_fma_f64 v[0:1], v[32:33], s[0:1], v[0:1]
	v_add_f64 v[28:29], v[36:37], v[38:39]
	v_add_f64 v[30:31], v[44:45], v[68:69]
	v_fma_f64 v[62:63], v[40:41], s[16:17], v[68:69]
	v_add_f64 v[14:15], v[40:41], v[14:15]
	v_fma_f64 v[8:9], v[44:45], -0.5, v[8:9]
	v_fma_f64 v[10:11], v[48:49], s[0:1], v[10:11]
	v_fma_f64 v[12:13], v[4:5], -0.5, v[12:13]
	v_add_f64 v[16:17], v[16:17], v[82:83]
	v_mul_f64 v[64:65], v[52:53], s[6:7]
	s_mov_b32 s7, 0x3fe491b7
	v_add_f64 v[58:59], v[4:5], v[66:67]
	v_fma_f64 v[76:77], v[46:47], s[16:17], v[68:69]
	v_add_f64 v[26:27], v[24:25], v[26:27]
	v_fma_f64 v[60:61], v[38:39], s[4:5], v[60:61]
	v_add_f64 v[18:19], v[18:19], v[80:81]
	v_fma_f64 v[80:81], v[38:39], s[8:9], v[0:1]
	v_mul_f64 v[38:39], v[38:39], s[6:7]
	v_fma_f64 v[74:75], v[24:25], s[16:17], v[66:67]
	v_fma_f64 v[78:79], v[2:3], s[16:17], v[66:67]
	v_add_f64 v[28:29], v[28:29], -v[34:35]
	v_fma_f64 v[62:63], v[46:47], s[12:13], v[62:63]
	v_fma_f64 v[0:1], v[46:47], s[14:15], v[8:9]
	;; [unrolled: 1-line block ×4, first 2 shown]
	v_fma_f64 v[10:11], v[14:15], -0.5, v[30:31]
	v_add_f64 v[14:15], v[20:21], v[16:17]
	v_mul_f64 v[16:17], v[6:7], s[6:7]
	v_add_f64 v[12:13], v[22:23], v[18:19]
	v_fma_f64 v[18:19], v[26:27], -0.5, v[58:59]
	v_fma_f64 v[22:23], v[34:35], s[4:5], v[38:39]
	v_fma_f64 v[26:27], v[42:43], s[12:13], v[76:77]
	v_add_f64 v[56:57], v[52:53], v[6:7]
	v_fma_f64 v[64:65], v[6:7], s[4:5], v[64:65]
	v_fma_f64 v[74:75], v[2:3], s[12:13], v[74:75]
	v_add_f64 v[2:3], v[0:1], -v[80:81]
	v_add_f64 v[0:1], v[46:47], v[8:9]
	v_mul_f64 v[20:21], v[28:29], s[0:1]
	v_fma_f64 v[6:7], v[28:29], s[18:19], v[10:11]
	v_fma_f64 v[28:29], v[32:33], s[18:19], v[60:61]
	v_fma_f64 v[16:17], v[50:51], s[4:5], v[16:17]
	v_fma_f64 v[30:31], v[54:55], s[12:13], v[78:79]
	v_fma_f64 v[38:39], v[44:45], -0.5, v[62:63]
	v_fma_f64 v[22:23], v[32:33], s[0:1], v[22:23]
	v_fma_f64 v[26:27], v[44:45], -0.5, v[26:27]
	v_add_f64 v[56:57], v[56:57], -v[50:51]
	v_add_f64 v[10:11], v[68:69], v[12:13]
	v_fma_f64 v[12:13], v[46:47], -2.0, v[0:1]
	v_fma_f64 v[46:47], v[48:49], s[18:19], v[64:65]
	v_fma_f64 v[58:59], v[4:5], -0.5, v[74:75]
	v_fma_f64 v[28:29], v[34:35], s[8:9], v[28:29]
	v_fma_f64 v[16:17], v[48:49], s[0:1], v[16:17]
	v_fma_f64 v[4:5], v[4:5], -0.5, v[30:31]
	v_fma_f64 v[30:31], v[42:43], s[14:15], v[38:39]
	v_fma_f64 v[36:37], v[36:37], s[8:9], v[22:23]
	;; [unrolled: 1-line block ×5, first 2 shown]
	v_mul_f64 v[38:39], v[56:57], s[0:1]
	v_fma_f64 v[40:41], v[52:53], s[8:9], v[16:17]
	v_fma_f64 v[24:25], v[24:25], s[14:15], v[4:5]
	;; [unrolled: 1-line block ×3, first 2 shown]
	v_add_f64 v[18:19], v[30:31], -v[28:29]
	v_add_f64 v[26:27], v[26:27], -v[36:37]
	v_mad_u64_u32 v[42:43], s[0:1], s2, v149, 0
	v_add_f64 v[16:17], v[32:33], v[34:35]
	v_fma_f64 v[22:23], v[20:21], 2.0, v[6:7]
	v_add_f64 v[24:25], v[40:41], v[24:25]
	v_fma_f64 v[20:21], v[38:39], -2.0, v[4:5]
	v_fma_f64 v[30:31], v[28:29], 2.0, v[18:19]
	v_mov_b32_e32 v28, v43
	v_mad_u64_u32 v[38:39], s[0:1], s3, v149, v[28:29]
	v_fma_f64 v[34:35], v[36:37], 2.0, v[26:27]
	v_lshlrev_b64 v[36:37], 4, v[70:71]
	v_mov_b32_e32 v43, v38
	v_mov_b32_e32 v38, s11
	v_add_co_u32_e32 v39, vcc, s10, v36
	v_addc_co_u32_e32 v38, vcc, v38, v37, vcc
	v_lshlrev_b64 v[36:37], 4, v[72:73]
	v_fma_f64 v[28:29], v[32:33], -2.0, v[16:17]
	v_fma_f64 v[32:33], v[40:41], -2.0, v[24:25]
	v_add_co_u32_e32 v44, vcc, v39, v36
	v_add_u32_e32 v40, 0x41, v149
	v_addc_co_u32_e32 v45, vcc, v38, v37, vcc
	v_mad_u64_u32 v[38:39], s[0:1], s2, v40, 0
	v_add_f64 v[8:9], v[66:67], v[14:15]
	v_lshlrev_b64 v[36:37], 4, v[42:43]
	v_mad_u64_u32 v[39:40], s[0:1], s3, v40, v[39:40]
	v_add_u32_e32 v42, 0x82, v149
	v_mad_u64_u32 v[40:41], s[0:1], s2, v42, 0
	v_add_co_u32_e32 v36, vcc, v44, v36
	v_addc_co_u32_e32 v37, vcc, v45, v37, vcc
	global_store_dwordx4 v[36:37], v[8:11], off
	v_fma_f64 v[14:15], v[80:81], 2.0, v[2:3]
	v_lshlrev_b64 v[8:9], 4, v[38:39]
	v_mov_b32_e32 v10, v41
	v_mad_u64_u32 v[10:11], s[0:1], s3, v42, v[10:11]
	v_add_co_u32_e32 v8, vcc, v44, v8
	v_addc_co_u32_e32 v9, vcc, v45, v9, vcc
	global_store_dwordx4 v[8:9], v[24:27], off
	v_mov_b32_e32 v41, v10
	v_add_u32_e32 v24, 0xc3, v149
	v_mad_u64_u32 v[10:11], s[0:1], s2, v24, 0
	v_lshlrev_b64 v[8:9], 4, v[40:41]
	v_add_u32_e32 v27, 0x104, v149
	v_mad_u64_u32 v[24:25], s[0:1], s3, v24, v[11:12]
	v_add_co_u32_e32 v8, vcc, v44, v8
	v_addc_co_u32_e32 v9, vcc, v45, v9, vcc
	v_mov_b32_e32 v11, v24
	v_mad_u64_u32 v[25:26], s[0:1], s2, v27, 0
	global_store_dwordx4 v[8:9], v[16:19], off
	v_lshlrev_b64 v[8:9], 4, v[10:11]
	v_mov_b32_e32 v10, v26
	v_add_co_u32_e32 v8, vcc, v44, v8
	v_addc_co_u32_e32 v9, vcc, v45, v9, vcc
	global_store_dwordx4 v[8:9], v[4:7], off
	v_add_u32_e32 v8, 0x145, v149
	v_mad_u64_u32 v[10:11], s[0:1], s3, v27, v[10:11]
	v_mad_u64_u32 v[6:7], s[0:1], s2, v8, 0
	v_mov_b32_e32 v26, v10
	v_add_u32_e32 v10, 0x186, v149
	v_mad_u64_u32 v[7:8], s[0:1], s3, v8, v[7:8]
	v_lshlrev_b64 v[4:5], 4, v[25:26]
	v_mad_u64_u32 v[8:9], s[0:1], s2, v10, 0
	v_add_co_u32_e32 v4, vcc, v44, v4
	v_addc_co_u32_e32 v5, vcc, v45, v5, vcc
	global_store_dwordx4 v[4:5], v[0:3], off
	v_add_u32_e32 v4, 0x1c7, v149
	v_mov_b32_e32 v2, v9
	v_mad_u64_u32 v[2:3], s[0:1], s3, v10, v[2:3]
	v_lshlrev_b64 v[0:1], 4, v[6:7]
	v_add_u32_e32 v6, 0x208, v149
	v_mov_b32_e32 v9, v2
	v_mad_u64_u32 v[2:3], s[0:1], s2, v4, 0
	v_add_co_u32_e32 v0, vcc, v44, v0
	v_addc_co_u32_e32 v1, vcc, v45, v1, vcc
	v_mad_u64_u32 v[3:4], s[0:1], s3, v4, v[3:4]
	global_store_dwordx4 v[0:1], v[12:15], off
	v_lshlrev_b64 v[0:1], 4, v[8:9]
	v_mad_u64_u32 v[4:5], s[0:1], s2, v6, 0
	v_add_co_u32_e32 v0, vcc, v44, v0
	v_addc_co_u32_e32 v1, vcc, v45, v1, vcc
	global_store_dwordx4 v[0:1], v[20:23], off
	v_lshlrev_b64 v[0:1], 4, v[2:3]
	v_mov_b32_e32 v2, v5
	v_mad_u64_u32 v[2:3], s[0:1], s3, v6, v[2:3]
	v_add_co_u32_e32 v0, vcc, v44, v0
	v_addc_co_u32_e32 v1, vcc, v45, v1, vcc
	v_mov_b32_e32 v5, v2
	global_store_dwordx4 v[0:1], v[28:31], off
	v_lshlrev_b64 v[0:1], 4, v[4:5]
	v_add_co_u32_e32 v0, vcc, v44, v0
	v_addc_co_u32_e32 v1, vcc, v45, v1, vcc
	global_store_dwordx4 v[0:1], v[32:35], off
.LBB0_20:
	s_endpgm
	.section	.rodata,"a",@progbits
	.p2align	6, 0x0
	.amdhsa_kernel fft_rtc_fwd_len585_factors_13_5_9_wgs_195_tpt_65_dp_op_CI_CI_sbrr_dirReg
		.amdhsa_group_segment_fixed_size 0
		.amdhsa_private_segment_fixed_size 0
		.amdhsa_kernarg_size 104
		.amdhsa_user_sgpr_count 6
		.amdhsa_user_sgpr_private_segment_buffer 1
		.amdhsa_user_sgpr_dispatch_ptr 0
		.amdhsa_user_sgpr_queue_ptr 0
		.amdhsa_user_sgpr_kernarg_segment_ptr 1
		.amdhsa_user_sgpr_dispatch_id 0
		.amdhsa_user_sgpr_flat_scratch_init 0
		.amdhsa_user_sgpr_private_segment_size 0
		.amdhsa_uses_dynamic_stack 0
		.amdhsa_system_sgpr_private_segment_wavefront_offset 0
		.amdhsa_system_sgpr_workgroup_id_x 1
		.amdhsa_system_sgpr_workgroup_id_y 0
		.amdhsa_system_sgpr_workgroup_id_z 0
		.amdhsa_system_sgpr_workgroup_info 0
		.amdhsa_system_vgpr_workitem_id 0
		.amdhsa_next_free_vgpr 181
		.amdhsa_next_free_sgpr 50
		.amdhsa_reserve_vcc 1
		.amdhsa_reserve_flat_scratch 0
		.amdhsa_float_round_mode_32 0
		.amdhsa_float_round_mode_16_64 0
		.amdhsa_float_denorm_mode_32 3
		.amdhsa_float_denorm_mode_16_64 3
		.amdhsa_dx10_clamp 1
		.amdhsa_ieee_mode 1
		.amdhsa_fp16_overflow 0
		.amdhsa_exception_fp_ieee_invalid_op 0
		.amdhsa_exception_fp_denorm_src 0
		.amdhsa_exception_fp_ieee_div_zero 0
		.amdhsa_exception_fp_ieee_overflow 0
		.amdhsa_exception_fp_ieee_underflow 0
		.amdhsa_exception_fp_ieee_inexact 0
		.amdhsa_exception_int_div_zero 0
	.end_amdhsa_kernel
	.text
.Lfunc_end0:
	.size	fft_rtc_fwd_len585_factors_13_5_9_wgs_195_tpt_65_dp_op_CI_CI_sbrr_dirReg, .Lfunc_end0-fft_rtc_fwd_len585_factors_13_5_9_wgs_195_tpt_65_dp_op_CI_CI_sbrr_dirReg
                                        ; -- End function
	.section	.AMDGPU.csdata,"",@progbits
; Kernel info:
; codeLenInByte = 9556
; NumSgprs: 54
; NumVgprs: 181
; ScratchSize: 0
; MemoryBound: 1
; FloatMode: 240
; IeeeMode: 1
; LDSByteSize: 0 bytes/workgroup (compile time only)
; SGPRBlocks: 6
; VGPRBlocks: 45
; NumSGPRsForWavesPerEU: 54
; NumVGPRsForWavesPerEU: 181
; Occupancy: 1
; WaveLimiterHint : 1
; COMPUTE_PGM_RSRC2:SCRATCH_EN: 0
; COMPUTE_PGM_RSRC2:USER_SGPR: 6
; COMPUTE_PGM_RSRC2:TRAP_HANDLER: 0
; COMPUTE_PGM_RSRC2:TGID_X_EN: 1
; COMPUTE_PGM_RSRC2:TGID_Y_EN: 0
; COMPUTE_PGM_RSRC2:TGID_Z_EN: 0
; COMPUTE_PGM_RSRC2:TIDIG_COMP_CNT: 0
	.type	__hip_cuid_892d73c573333a22,@object ; @__hip_cuid_892d73c573333a22
	.section	.bss,"aw",@nobits
	.globl	__hip_cuid_892d73c573333a22
__hip_cuid_892d73c573333a22:
	.byte	0                               ; 0x0
	.size	__hip_cuid_892d73c573333a22, 1

	.ident	"AMD clang version 19.0.0git (https://github.com/RadeonOpenCompute/llvm-project roc-6.4.0 25133 c7fe45cf4b819c5991fe208aaa96edf142730f1d)"
	.section	".note.GNU-stack","",@progbits
	.addrsig
	.addrsig_sym __hip_cuid_892d73c573333a22
	.amdgpu_metadata
---
amdhsa.kernels:
  - .args:
      - .actual_access:  read_only
        .address_space:  global
        .offset:         0
        .size:           8
        .value_kind:     global_buffer
      - .offset:         8
        .size:           8
        .value_kind:     by_value
      - .actual_access:  read_only
        .address_space:  global
        .offset:         16
        .size:           8
        .value_kind:     global_buffer
      - .actual_access:  read_only
        .address_space:  global
        .offset:         24
        .size:           8
        .value_kind:     global_buffer
      - .actual_access:  read_only
        .address_space:  global
        .offset:         32
        .size:           8
        .value_kind:     global_buffer
      - .offset:         40
        .size:           8
        .value_kind:     by_value
      - .actual_access:  read_only
        .address_space:  global
        .offset:         48
        .size:           8
        .value_kind:     global_buffer
      - .actual_access:  read_only
        .address_space:  global
        .offset:         56
        .size:           8
        .value_kind:     global_buffer
      - .offset:         64
        .size:           4
        .value_kind:     by_value
      - .actual_access:  read_only
        .address_space:  global
        .offset:         72
        .size:           8
        .value_kind:     global_buffer
      - .actual_access:  read_only
        .address_space:  global
        .offset:         80
        .size:           8
        .value_kind:     global_buffer
      - .actual_access:  read_only
        .address_space:  global
        .offset:         88
        .size:           8
        .value_kind:     global_buffer
      - .actual_access:  write_only
        .address_space:  global
        .offset:         96
        .size:           8
        .value_kind:     global_buffer
    .group_segment_fixed_size: 0
    .kernarg_segment_align: 8
    .kernarg_segment_size: 104
    .language:       OpenCL C
    .language_version:
      - 2
      - 0
    .max_flat_workgroup_size: 195
    .name:           fft_rtc_fwd_len585_factors_13_5_9_wgs_195_tpt_65_dp_op_CI_CI_sbrr_dirReg
    .private_segment_fixed_size: 0
    .sgpr_count:     54
    .sgpr_spill_count: 0
    .symbol:         fft_rtc_fwd_len585_factors_13_5_9_wgs_195_tpt_65_dp_op_CI_CI_sbrr_dirReg.kd
    .uniform_work_group_size: 1
    .uses_dynamic_stack: false
    .vgpr_count:     181
    .vgpr_spill_count: 0
    .wavefront_size: 64
amdhsa.target:   amdgcn-amd-amdhsa--gfx906
amdhsa.version:
  - 1
  - 2
...

	.end_amdgpu_metadata
